;; amdgpu-corpus repo=ROCm/rocFFT kind=compiled arch=gfx906 opt=O3
	.text
	.amdgcn_target "amdgcn-amd-amdhsa--gfx906"
	.amdhsa_code_object_version 6
	.protected	fft_rtc_back_len121_factors_11_11_wgs_121_tpt_11_halfLds_dp_op_CI_CI_unitstride_sbrr_dirReg ; -- Begin function fft_rtc_back_len121_factors_11_11_wgs_121_tpt_11_halfLds_dp_op_CI_CI_unitstride_sbrr_dirReg
	.globl	fft_rtc_back_len121_factors_11_11_wgs_121_tpt_11_halfLds_dp_op_CI_CI_unitstride_sbrr_dirReg
	.p2align	8
	.type	fft_rtc_back_len121_factors_11_11_wgs_121_tpt_11_halfLds_dp_op_CI_CI_unitstride_sbrr_dirReg,@function
fft_rtc_back_len121_factors_11_11_wgs_121_tpt_11_halfLds_dp_op_CI_CI_unitstride_sbrr_dirReg: ; @fft_rtc_back_len121_factors_11_11_wgs_121_tpt_11_halfLds_dp_op_CI_CI_unitstride_sbrr_dirReg
; %bb.0:
	v_mul_u32_u24_e32 v1, 0x1746, v0
	s_load_dwordx4 s[8:11], s[4:5], 0x58
	s_load_dwordx4 s[12:15], s[4:5], 0x0
	;; [unrolled: 1-line block ×3, first 2 shown]
	v_lshrrev_b32_e32 v1, 16, v1
	v_mad_u64_u32 v[52:53], s[0:1], s6, 11, v[1:2]
	v_mov_b32_e32 v4, 0
	v_mov_b32_e32 v1, 0
	s_waitcnt lgkmcnt(0)
	v_cmp_lt_u64_e64 s[0:1], s[14:15], 2
	v_mov_b32_e32 v5, 0
	v_mov_b32_e32 v53, v1
	;; [unrolled: 1-line block ×4, first 2 shown]
	s_and_b64 vcc, exec, s[0:1]
	v_mov_b32_e32 v44, v4
	v_mov_b32_e32 v47, v53
	s_cbranch_vccnz .LBB0_8
; %bb.1:
	s_load_dwordx2 s[0:1], s[4:5], 0x10
	s_add_u32 s2, s18, 8
	s_addc_u32 s3, s19, 0
	s_add_u32 s6, s16, 8
	v_mov_b32_e32 v4, 0
	s_addc_u32 s7, s17, 0
	v_mov_b32_e32 v5, 0
	s_waitcnt lgkmcnt(0)
	s_add_u32 s20, s0, 8
	v_mov_b32_e32 v45, v5
	v_mov_b32_e32 v6, v52
	s_addc_u32 s21, s1, 0
	s_mov_b64 s[22:23], 1
	v_mov_b32_e32 v44, v4
	v_mov_b32_e32 v7, v53
.LBB0_2:                                ; =>This Inner Loop Header: Depth=1
	s_load_dwordx2 s[24:25], s[20:21], 0x0
                                        ; implicit-def: $vgpr46_vgpr47
	s_waitcnt lgkmcnt(0)
	v_or_b32_e32 v2, s25, v7
	v_cmp_ne_u64_e32 vcc, 0, v[1:2]
	s_and_saveexec_b64 s[0:1], vcc
	s_xor_b64 s[26:27], exec, s[0:1]
	s_cbranch_execz .LBB0_4
; %bb.3:                                ;   in Loop: Header=BB0_2 Depth=1
	v_cvt_f32_u32_e32 v2, s24
	v_cvt_f32_u32_e32 v3, s25
	s_sub_u32 s0, 0, s24
	s_subb_u32 s1, 0, s25
	v_mac_f32_e32 v2, 0x4f800000, v3
	v_rcp_f32_e32 v2, v2
	v_mul_f32_e32 v2, 0x5f7ffffc, v2
	v_mul_f32_e32 v3, 0x2f800000, v2
	v_trunc_f32_e32 v3, v3
	v_mac_f32_e32 v2, 0xcf800000, v3
	v_cvt_u32_f32_e32 v3, v3
	v_cvt_u32_f32_e32 v2, v2
	v_mul_lo_u32 v8, s0, v3
	v_mul_hi_u32 v9, s0, v2
	v_mul_lo_u32 v11, s1, v2
	v_mul_lo_u32 v10, s0, v2
	v_add_u32_e32 v8, v9, v8
	v_add_u32_e32 v8, v8, v11
	v_mul_hi_u32 v9, v2, v10
	v_mul_lo_u32 v11, v2, v8
	v_mul_hi_u32 v13, v2, v8
	v_mul_hi_u32 v12, v3, v10
	v_mul_lo_u32 v10, v3, v10
	v_mul_hi_u32 v14, v3, v8
	v_add_co_u32_e32 v9, vcc, v9, v11
	v_addc_co_u32_e32 v11, vcc, 0, v13, vcc
	v_mul_lo_u32 v8, v3, v8
	v_add_co_u32_e32 v9, vcc, v9, v10
	v_addc_co_u32_e32 v9, vcc, v11, v12, vcc
	v_addc_co_u32_e32 v10, vcc, 0, v14, vcc
	v_add_co_u32_e32 v8, vcc, v9, v8
	v_addc_co_u32_e32 v9, vcc, 0, v10, vcc
	v_add_co_u32_e32 v2, vcc, v2, v8
	v_addc_co_u32_e32 v3, vcc, v3, v9, vcc
	v_mul_lo_u32 v8, s0, v3
	v_mul_hi_u32 v9, s0, v2
	v_mul_lo_u32 v10, s1, v2
	v_mul_lo_u32 v11, s0, v2
	v_add_u32_e32 v8, v9, v8
	v_add_u32_e32 v8, v8, v10
	v_mul_lo_u32 v12, v2, v8
	v_mul_hi_u32 v13, v2, v11
	v_mul_hi_u32 v14, v2, v8
	;; [unrolled: 1-line block ×3, first 2 shown]
	v_mul_lo_u32 v11, v3, v11
	v_mul_hi_u32 v9, v3, v8
	v_add_co_u32_e32 v12, vcc, v13, v12
	v_addc_co_u32_e32 v13, vcc, 0, v14, vcc
	v_mul_lo_u32 v8, v3, v8
	v_add_co_u32_e32 v11, vcc, v12, v11
	v_addc_co_u32_e32 v10, vcc, v13, v10, vcc
	v_addc_co_u32_e32 v9, vcc, 0, v9, vcc
	v_add_co_u32_e32 v8, vcc, v10, v8
	v_addc_co_u32_e32 v9, vcc, 0, v9, vcc
	v_add_co_u32_e32 v8, vcc, v2, v8
	v_addc_co_u32_e32 v9, vcc, v3, v9, vcc
	v_mad_u64_u32 v[2:3], s[0:1], v6, v9, 0
	v_mul_hi_u32 v10, v6, v8
	v_add_co_u32_e32 v10, vcc, v10, v2
	v_addc_co_u32_e32 v11, vcc, 0, v3, vcc
	v_mad_u64_u32 v[2:3], s[0:1], v7, v8, 0
	v_mad_u64_u32 v[8:9], s[0:1], v7, v9, 0
	v_add_co_u32_e32 v2, vcc, v10, v2
	v_addc_co_u32_e32 v2, vcc, v11, v3, vcc
	v_addc_co_u32_e32 v3, vcc, 0, v9, vcc
	v_add_co_u32_e32 v8, vcc, v2, v8
	v_addc_co_u32_e32 v9, vcc, 0, v3, vcc
	v_mul_lo_u32 v10, s25, v8
	v_mul_lo_u32 v11, s24, v9
	v_mad_u64_u32 v[2:3], s[0:1], s24, v8, 0
	v_add3_u32 v3, v3, v11, v10
	v_sub_u32_e32 v10, v7, v3
	v_mov_b32_e32 v11, s25
	v_sub_co_u32_e32 v2, vcc, v6, v2
	v_subb_co_u32_e64 v10, s[0:1], v10, v11, vcc
	v_subrev_co_u32_e64 v11, s[0:1], s24, v2
	v_subbrev_co_u32_e64 v10, s[0:1], 0, v10, s[0:1]
	v_cmp_le_u32_e64 s[0:1], s25, v10
	v_cndmask_b32_e64 v12, 0, -1, s[0:1]
	v_cmp_le_u32_e64 s[0:1], s24, v11
	v_cndmask_b32_e64 v11, 0, -1, s[0:1]
	v_cmp_eq_u32_e64 s[0:1], s25, v10
	v_cndmask_b32_e64 v10, v12, v11, s[0:1]
	v_add_co_u32_e64 v11, s[0:1], 2, v8
	v_addc_co_u32_e64 v12, s[0:1], 0, v9, s[0:1]
	v_add_co_u32_e64 v13, s[0:1], 1, v8
	v_addc_co_u32_e64 v14, s[0:1], 0, v9, s[0:1]
	v_subb_co_u32_e32 v3, vcc, v7, v3, vcc
	v_cmp_ne_u32_e64 s[0:1], 0, v10
	v_cmp_le_u32_e32 vcc, s25, v3
	v_cndmask_b32_e64 v10, v14, v12, s[0:1]
	v_cndmask_b32_e64 v12, 0, -1, vcc
	v_cmp_le_u32_e32 vcc, s24, v2
	v_cndmask_b32_e64 v2, 0, -1, vcc
	v_cmp_eq_u32_e32 vcc, s25, v3
	v_cndmask_b32_e32 v2, v12, v2, vcc
	v_cmp_ne_u32_e32 vcc, 0, v2
	v_cndmask_b32_e64 v2, v13, v11, s[0:1]
	v_cndmask_b32_e32 v47, v9, v10, vcc
	v_cndmask_b32_e32 v46, v8, v2, vcc
.LBB0_4:                                ;   in Loop: Header=BB0_2 Depth=1
	s_andn2_saveexec_b64 s[0:1], s[26:27]
	s_cbranch_execz .LBB0_6
; %bb.5:                                ;   in Loop: Header=BB0_2 Depth=1
	v_cvt_f32_u32_e32 v2, s24
	s_sub_i32 s26, 0, s24
	v_mov_b32_e32 v47, v1
	v_rcp_iflag_f32_e32 v2, v2
	v_mul_f32_e32 v2, 0x4f7ffffe, v2
	v_cvt_u32_f32_e32 v2, v2
	v_mul_lo_u32 v3, s26, v2
	v_mul_hi_u32 v3, v2, v3
	v_add_u32_e32 v2, v2, v3
	v_mul_hi_u32 v2, v6, v2
	v_mul_lo_u32 v3, v2, s24
	v_add_u32_e32 v8, 1, v2
	v_sub_u32_e32 v3, v6, v3
	v_subrev_u32_e32 v9, s24, v3
	v_cmp_le_u32_e32 vcc, s24, v3
	v_cndmask_b32_e32 v3, v3, v9, vcc
	v_cndmask_b32_e32 v2, v2, v8, vcc
	v_add_u32_e32 v8, 1, v2
	v_cmp_le_u32_e32 vcc, s24, v3
	v_cndmask_b32_e32 v46, v2, v8, vcc
.LBB0_6:                                ;   in Loop: Header=BB0_2 Depth=1
	s_or_b64 exec, exec, s[0:1]
	v_mul_lo_u32 v8, v47, s24
	v_mul_lo_u32 v9, v46, s25
	v_mad_u64_u32 v[2:3], s[0:1], v46, s24, 0
	s_load_dwordx2 s[0:1], s[6:7], 0x0
	s_load_dwordx2 s[24:25], s[2:3], 0x0
	v_add3_u32 v3, v3, v9, v8
	v_sub_co_u32_e32 v2, vcc, v6, v2
	v_subb_co_u32_e32 v3, vcc, v7, v3, vcc
	s_waitcnt lgkmcnt(0)
	v_mul_lo_u32 v6, s0, v3
	v_mul_lo_u32 v7, s1, v2
	v_mad_u64_u32 v[4:5], s[0:1], s0, v2, v[4:5]
	v_mul_lo_u32 v3, s24, v3
	v_mul_lo_u32 v8, s25, v2
	v_mad_u64_u32 v[44:45], s[0:1], s24, v2, v[44:45]
	s_add_u32 s22, s22, 1
	s_addc_u32 s23, s23, 0
	s_add_u32 s2, s2, 8
	v_add3_u32 v45, v8, v45, v3
	s_addc_u32 s3, s3, 0
	v_mov_b32_e32 v2, s14
	s_add_u32 s6, s6, 8
	v_mov_b32_e32 v3, s15
	s_addc_u32 s7, s7, 0
	v_cmp_ge_u64_e32 vcc, s[22:23], v[2:3]
	s_add_u32 s20, s20, 8
	v_add3_u32 v5, v7, v5, v6
	s_addc_u32 s21, s21, 0
	s_cbranch_vccnz .LBB0_8
; %bb.7:                                ;   in Loop: Header=BB0_2 Depth=1
	v_mov_b32_e32 v6, v46
	v_mov_b32_e32 v7, v47
	s_branch .LBB0_2
.LBB0_8:
	s_load_dwordx2 s[0:1], s[4:5], 0x28
	s_lshl_b64 s[4:5], s[14:15], 3
	s_add_u32 s30, s18, s4
	s_addc_u32 s31, s19, s5
                                        ; implicit-def: $sgpr6_sgpr7
                                        ; implicit-def: $vgpr50
	s_waitcnt lgkmcnt(0)
	v_cmp_gt_u64_e32 vcc, s[0:1], v[46:47]
	v_cmp_le_u64_e64 s[0:1], s[0:1], v[46:47]
	s_and_saveexec_b64 s[2:3], s[0:1]
	s_xor_b64 s[0:1], exec, s[2:3]
; %bb.9:
	s_mov_b32 s2, 0x1745d175
	v_mul_hi_u32 v1, v0, s2
	s_mov_b64 s[6:7], 0
                                        ; implicit-def: $vgpr4_vgpr5
	v_mul_u32_u24_e32 v1, 11, v1
	v_sub_u32_e32 v50, v0, v1
                                        ; implicit-def: $vgpr0
; %bb.10:
	s_or_saveexec_b64 s[2:3], s[0:1]
	v_mov_b32_e32 v49, s7
	v_mov_b32_e32 v48, s6
                                        ; implicit-def: $vgpr30_vgpr31
                                        ; implicit-def: $vgpr22_vgpr23
                                        ; implicit-def: $vgpr38_vgpr39
                                        ; implicit-def: $vgpr42_vgpr43
                                        ; implicit-def: $vgpr34_vgpr35
                                        ; implicit-def: $vgpr26_vgpr27
                                        ; implicit-def: $vgpr18_vgpr19
                                        ; implicit-def: $vgpr14_vgpr15
                                        ; implicit-def: $vgpr6_vgpr7
                                        ; implicit-def: $vgpr10_vgpr11
                                        ; implicit-def: $vgpr2_vgpr3
	s_xor_b64 exec, exec, s[2:3]
	s_cbranch_execz .LBB0_12
; %bb.11:
	s_add_u32 s0, s16, s4
	s_addc_u32 s1, s17, s5
	s_load_dwordx2 s[0:1], s[0:1], 0x0
	s_mov_b32 s4, 0x1745d175
	v_mul_hi_u32 v3, v0, s4
	v_mov_b32_e32 v51, 0
	s_waitcnt lgkmcnt(0)
	v_mul_lo_u32 v6, s1, v46
	v_mul_lo_u32 v7, s0, v47
	v_mad_u64_u32 v[1:2], s[0:1], s0, v46, 0
	v_mul_u32_u24_e32 v3, 11, v3
	v_sub_u32_e32 v50, v0, v3
	v_add3_u32 v2, v2, v7, v6
	v_lshlrev_b64 v[0:1], 4, v[1:2]
	v_mov_b32_e32 v2, s9
	v_add_co_u32_e64 v3, s[0:1], s8, v0
	v_addc_co_u32_e64 v2, s[0:1], v2, v1, s[0:1]
	v_lshlrev_b64 v[0:1], 4, v[4:5]
	v_add_co_u32_e64 v0, s[0:1], v3, v0
	v_addc_co_u32_e64 v1, s[0:1], v2, v1, s[0:1]
	v_lshlrev_b32_e32 v2, 4, v50
	v_add_co_u32_e64 v48, s[0:1], v0, v2
	v_addc_co_u32_e64 v49, s[0:1], 0, v1, s[0:1]
	global_load_dwordx4 v[0:3], v[48:49], off
	global_load_dwordx4 v[8:11], v[48:49], off offset:176
	global_load_dwordx4 v[4:7], v[48:49], off offset:352
	;; [unrolled: 1-line block ×10, first 2 shown]
	v_mov_b32_e32 v48, v50
	v_mov_b32_e32 v49, v51
.LBB0_12:
	s_or_b64 exec, exec, s[2:3]
	s_waitcnt vmcnt(9)
	v_add_f64 v[57:58], v[8:9], v[0:1]
	v_add_f64 v[59:60], v[10:11], v[2:3]
	s_waitcnt vmcnt(3)
	v_add_f64 v[67:68], v[40:41], v[16:17]
	v_add_f64 v[69:70], v[42:43], v[18:19]
	v_add_f64 v[71:72], v[16:17], -v[40:41]
	v_add_f64 v[73:74], v[18:19], -v[42:43]
	s_waitcnt vmcnt(0)
	v_add_f64 v[61:62], v[28:29], v[8:9]
	v_add_f64 v[75:76], v[30:31], v[10:11]
	;; [unrolled: 1-line block ×4, first 2 shown]
	v_add_f64 v[8:9], v[8:9], -v[28:29]
	v_add_f64 v[10:11], v[10:11], -v[30:31]
	s_mov_b32 s20, 0xf8bb580b
	s_mov_b32 s18, 0x8eee2c13
	;; [unrolled: 1-line block ×4, first 2 shown]
	v_add_f64 v[57:58], v[12:13], v[57:58]
	v_add_f64 v[59:60], v[14:15], v[59:60]
	s_mov_b32 s22, 0xfd768dbf
	s_mov_b32 s21, 0xbfe14ced
	;; [unrolled: 1-line block ×6, first 2 shown]
	v_add_f64 v[16:17], v[16:17], v[57:58]
	v_add_f64 v[18:19], v[18:19], v[59:60]
	;; [unrolled: 1-line block ×4, first 2 shown]
	v_add_f64 v[63:64], v[24:25], -v[32:33]
	v_add_f64 v[65:66], v[26:27], -v[34:35]
	v_add_f64 v[77:78], v[36:37], v[12:13]
	v_add_f64 v[12:13], v[12:13], -v[36:37]
	v_add_f64 v[16:17], v[24:25], v[16:17]
	v_add_f64 v[18:19], v[26:27], v[18:19]
	v_mul_f64 v[24:25], v[10:11], s[20:21]
	v_mul_f64 v[26:27], v[10:11], s[18:19]
	s_mov_b32 s8, 0x8764f0ba
	s_mov_b32 s6, 0xd9c712b6
	;; [unrolled: 1-line block ×4, first 2 shown]
	v_add_f64 v[16:17], v[32:33], v[16:17]
	v_add_f64 v[18:19], v[34:35], v[18:19]
	v_mul_f64 v[32:33], v[10:11], s[14:15]
	v_mul_f64 v[34:35], v[10:11], s[16:17]
	;; [unrolled: 1-line block ×3, first 2 shown]
	s_mov_b32 s0, 0x9bcd5057
	s_mov_b32 s9, 0x3feaeb8c
	;; [unrolled: 1-line block ×3, first 2 shown]
	v_add_f64 v[16:17], v[40:41], v[16:17]
	v_add_f64 v[18:19], v[42:43], v[18:19]
	v_mul_f64 v[42:43], v[8:9], s[14:15]
	s_mov_b32 s5, 0xbfc2375f
	s_mov_b32 s3, 0xbfe4f49e
	;; [unrolled: 1-line block ×3, first 2 shown]
	v_add_f64 v[79:80], v[38:39], v[14:15]
	v_add_f64 v[14:15], v[14:15], -v[38:39]
	v_add_f64 v[16:17], v[36:37], v[16:17]
	v_add_f64 v[18:19], v[38:39], v[18:19]
	v_mul_f64 v[36:37], v[8:9], s[20:21]
	v_add_f64 v[57:58], v[20:21], v[4:5]
	v_add_f64 v[59:60], v[22:23], v[6:7]
	v_add_f64 v[4:5], v[4:5], -v[20:21]
	v_add_f64 v[6:7], v[6:7], -v[22:23]
	v_fma_f64 v[38:39], v[61:62], s[8:9], v[24:25]
	v_add_f64 v[16:17], v[20:21], v[16:17]
	v_add_f64 v[18:19], v[22:23], v[18:19]
	v_fma_f64 v[20:21], v[61:62], s[8:9], -v[24:25]
	v_fma_f64 v[22:23], v[61:62], s[6:7], v[26:27]
	v_fma_f64 v[24:25], v[61:62], s[6:7], -v[26:27]
	v_fma_f64 v[26:27], v[61:62], s[4:5], v[32:33]
	;; [unrolled: 2-line block ×3, first 2 shown]
	v_add_f64 v[16:17], v[28:29], v[16:17]
	v_add_f64 v[28:29], v[30:31], v[18:19]
	v_mul_f64 v[30:31], v[8:9], s[18:19]
	v_fma_f64 v[18:19], v[61:62], s[2:3], -v[34:35]
	v_fma_f64 v[34:35], v[61:62], s[0:1], v[10:11]
	v_fma_f64 v[10:11], v[61:62], s[0:1], -v[10:11]
	v_mul_f64 v[61:62], v[8:9], s[16:17]
	v_mul_f64 v[8:9], v[8:9], s[22:23]
	v_fma_f64 v[81:82], v[75:76], s[8:9], -v[36:37]
	v_fma_f64 v[85:86], v[75:76], s[4:5], -v[42:43]
	;; [unrolled: 1-line block ×3, first 2 shown]
	v_fma_f64 v[36:37], v[75:76], s[8:9], v[36:37]
	v_fma_f64 v[30:31], v[75:76], s[6:7], v[30:31]
	;; [unrolled: 1-line block ×3, first 2 shown]
	v_fma_f64 v[87:88], v[75:76], s[2:3], -v[61:62]
	v_fma_f64 v[61:62], v[75:76], s[2:3], v[61:62]
	v_fma_f64 v[89:90], v[75:76], s[0:1], -v[8:9]
	v_fma_f64 v[8:9], v[75:76], s[0:1], v[8:9]
	v_add_f64 v[75:76], v[2:3], v[81:82]
	v_add_f64 v[81:82], v[2:3], v[83:84]
	;; [unrolled: 1-line block ×3, first 2 shown]
	v_mul_f64 v[85:86], v[6:7], s[18:19]
	s_mov_b32 s24, 0xba2e8ba3
	v_mul_hi_u32 v51, v52, s24
	v_add_f64 v[38:39], v[0:1], v[38:39]
	v_mul_f64 v[91:92], v[4:5], s[18:19]
	v_add_f64 v[20:21], v[0:1], v[20:21]
	v_lshrrev_b32_e32 v51, 3, v51
	v_mul_lo_u32 v51, v51, 11
	v_fma_f64 v[93:94], v[57:58], s[6:7], v[85:86]
	v_add_f64 v[36:37], v[2:3], v[36:37]
	v_add_f64 v[22:23], v[0:1], v[22:23]
	;; [unrolled: 1-line block ×15, first 2 shown]
	v_fma_f64 v[8:9], v[59:60], s[6:7], -v[91:92]
	v_sub_u32_e32 v101, v52, v51
	v_add_f64 v[10:11], v[93:94], v[38:39]
	v_mul_f64 v[38:39], v[6:7], s[16:17]
	v_mul_f64 v[51:52], v[4:5], s[16:17]
	s_mov_b32 s27, 0x3fd207e7
	s_mov_b32 s26, s22
	v_mul_f64 v[93:94], v[6:7], s[26:27]
	v_add_f64 v[8:9], v[8:9], v[75:76]
	v_fma_f64 v[75:76], v[57:58], s[6:7], -v[85:86]
	v_fma_f64 v[85:86], v[59:60], s[6:7], v[91:92]
	v_fma_f64 v[91:92], v[57:58], s[2:3], v[38:39]
	v_fma_f64 v[95:96], v[59:60], s[2:3], -v[51:52]
	v_fma_f64 v[38:39], v[57:58], s[2:3], -v[38:39]
	v_fma_f64 v[51:52], v[59:60], s[2:3], v[51:52]
	v_mul_f64 v[99:100], v[4:5], s[26:27]
	s_mov_b32 s29, 0x3fefac9e
	s_mov_b32 s28, s14
	;; [unrolled: 1-line block ×4, first 2 shown]
	v_add_f64 v[20:21], v[75:76], v[20:21]
	v_add_f64 v[36:37], v[85:86], v[36:37]
	;; [unrolled: 1-line block ×5, first 2 shown]
	v_fma_f64 v[38:39], v[59:60], s[0:1], -v[99:100]
	v_fma_f64 v[51:52], v[57:58], s[0:1], -v[93:94]
	v_fma_f64 v[81:82], v[59:60], s[0:1], v[99:100]
	v_mul_f64 v[85:86], v[6:7], s[28:29]
	v_mul_f64 v[6:7], v[6:7], s[24:25]
	v_fma_f64 v[97:98], v[57:58], s[0:1], v[93:94]
	v_add_f64 v[22:23], v[91:92], v[22:23]
	v_mul_f64 v[91:92], v[4:5], s[28:29]
	v_add_f64 v[38:39], v[38:39], v[83:84]
	v_add_f64 v[32:33], v[51:52], v[32:33]
	;; [unrolled: 1-line block ×3, first 2 shown]
	v_fma_f64 v[51:52], v[57:58], s[4:5], v[85:86]
	v_mul_f64 v[4:5], v[4:5], s[24:25]
	v_fma_f64 v[81:82], v[57:58], s[4:5], -v[85:86]
	v_fma_f64 v[83:84], v[57:58], s[8:9], v[6:7]
	v_fma_f64 v[6:7], v[57:58], s[8:9], -v[6:7]
	v_mul_f64 v[57:58], v[14:15], s[14:15]
	v_mul_f64 v[93:94], v[12:13], s[14:15]
	v_fma_f64 v[85:86], v[59:60], s[4:5], -v[91:92]
	v_fma_f64 v[91:92], v[59:60], s[4:5], v[91:92]
	v_fma_f64 v[95:96], v[59:60], s[8:9], -v[4:5]
	v_fma_f64 v[4:5], v[59:60], s[8:9], v[4:5]
	v_add_f64 v[18:19], v[81:82], v[18:19]
	s_mov_b32 s35, 0x3fed1bb4
	v_fma_f64 v[59:60], v[77:78], s[4:5], v[57:58]
	v_fma_f64 v[81:82], v[79:80], s[4:5], -v[93:94]
	s_mov_b32 s34, s18
	v_add_f64 v[40:41], v[51:52], v[40:41]
	v_add_f64 v[51:52], v[85:86], v[87:88]
	v_mul_f64 v[85:86], v[14:15], s[26:27]
	v_add_f64 v[0:1], v[6:7], v[0:1]
	v_add_f64 v[2:3], v[4:5], v[2:3]
	;; [unrolled: 1-line block ×3, first 2 shown]
	v_mul_f64 v[6:7], v[12:13], s[26:27]
	v_add_f64 v[8:9], v[81:82], v[8:9]
	v_fma_f64 v[10:11], v[77:78], s[4:5], -v[57:58]
	v_fma_f64 v[57:58], v[79:80], s[4:5], v[93:94]
	v_mul_f64 v[81:82], v[14:15], s[34:35]
	v_add_f64 v[26:27], v[97:98], v[26:27]
	v_add_f64 v[34:35], v[83:84], v[34:35]
	;; [unrolled: 1-line block ×3, first 2 shown]
	v_fma_f64 v[59:60], v[77:78], s[0:1], v[85:86]
	v_fma_f64 v[87:88], v[79:80], s[0:1], -v[6:7]
	v_mul_f64 v[89:90], v[12:13], s[34:35]
	v_add_f64 v[10:11], v[10:11], v[20:21]
	v_add_f64 v[20:21], v[57:58], v[36:37]
	v_fma_f64 v[6:7], v[79:80], s[0:1], v[6:7]
	v_fma_f64 v[36:37], v[77:78], s[6:7], v[81:82]
	v_fma_f64 v[85:86], v[77:78], s[0:1], -v[85:86]
	v_add_f64 v[22:23], v[59:60], v[22:23]
	v_add_f64 v[57:58], v[87:88], v[75:76]
	v_fma_f64 v[59:60], v[79:80], s[6:7], -v[89:90]
	v_fma_f64 v[75:76], v[77:78], s[6:7], -v[81:82]
	v_fma_f64 v[81:82], v[79:80], s[6:7], v[89:90]
	v_add_f64 v[6:7], v[6:7], v[30:31]
	v_mul_f64 v[30:31], v[14:15], s[20:21]
	v_add_f64 v[26:27], v[36:37], v[26:27]
	v_mul_f64 v[14:15], v[14:15], s[16:17]
	v_mul_f64 v[36:37], v[12:13], s[20:21]
	;; [unrolled: 1-line block ×3, first 2 shown]
	v_add_f64 v[61:62], v[91:92], v[61:62]
	v_add_f64 v[38:39], v[59:60], v[38:39]
	;; [unrolled: 1-line block ×4, first 2 shown]
	v_fma_f64 v[59:60], v[77:78], s[8:9], v[30:31]
	v_fma_f64 v[30:31], v[77:78], s[8:9], -v[30:31]
	v_fma_f64 v[75:76], v[77:78], s[2:3], v[14:15]
	v_fma_f64 v[81:82], v[79:80], s[8:9], -v[36:37]
	v_fma_f64 v[14:15], v[77:78], s[2:3], -v[14:15]
	v_fma_f64 v[36:37], v[79:80], s[8:9], v[36:37]
	v_mul_f64 v[77:78], v[73:74], s[16:17]
	v_mul_f64 v[87:88], v[71:72], s[16:17]
	v_add_f64 v[24:25], v[85:86], v[24:25]
	v_fma_f64 v[85:86], v[79:80], s[2:3], -v[12:13]
	v_fma_f64 v[12:13], v[79:80], s[2:3], v[12:13]
	v_add_f64 v[40:41], v[59:60], v[40:41]
	v_add_f64 v[18:19], v[30:31], v[18:19]
	;; [unrolled: 1-line block ×3, first 2 shown]
	v_fma_f64 v[36:37], v[67:68], s[2:3], v[77:78]
	v_add_f64 v[34:35], v[75:76], v[34:35]
	v_fma_f64 v[59:60], v[69:70], s[2:3], -v[87:88]
	v_mul_f64 v[75:76], v[73:74], s[28:29]
	v_mul_f64 v[79:80], v[71:72], s[28:29]
	v_add_f64 v[2:3], v[12:13], v[2:3]
	v_fma_f64 v[12:13], v[67:68], s[2:3], -v[77:78]
	v_add_f64 v[51:52], v[81:82], v[51:52]
	v_add_f64 v[0:1], v[14:15], v[0:1]
	;; [unrolled: 1-line block ×4, first 2 shown]
	v_fma_f64 v[14:15], v[69:70], s[2:3], v[87:88]
	v_fma_f64 v[36:37], v[67:68], s[4:5], v[75:76]
	v_fma_f64 v[59:60], v[69:70], s[4:5], -v[79:80]
	v_mul_f64 v[77:78], v[73:74], s[20:21]
	v_mul_f64 v[81:82], v[71:72], s[20:21]
	v_add_f64 v[10:11], v[12:13], v[10:11]
	v_fma_f64 v[12:13], v[69:70], s[4:5], v[79:80]
	v_fma_f64 v[75:76], v[67:68], s[4:5], -v[75:76]
	v_add_f64 v[14:15], v[14:15], v[20:21]
	v_add_f64 v[20:21], v[36:37], v[22:23]
	;; [unrolled: 1-line block ×3, first 2 shown]
	v_fma_f64 v[36:37], v[67:68], s[8:9], v[77:78]
	v_fma_f64 v[57:58], v[69:70], s[8:9], -v[81:82]
	v_mul_f64 v[59:60], v[73:74], s[22:23]
	v_add_f64 v[6:7], v[12:13], v[6:7]
	v_mul_f64 v[12:13], v[71:72], s[22:23]
	v_add_f64 v[24:25], v[75:76], v[24:25]
	v_fma_f64 v[75:76], v[67:68], s[8:9], -v[77:78]
	v_fma_f64 v[77:78], v[69:70], s[8:9], v[81:82]
	v_add_f64 v[26:27], v[36:37], v[26:27]
	v_add_f64 v[36:37], v[57:58], v[38:39]
	v_mul_f64 v[38:39], v[73:74], s[34:35]
	v_fma_f64 v[57:58], v[67:68], s[0:1], v[59:60]
	v_mul_f64 v[71:72], v[71:72], s[34:35]
	v_fma_f64 v[73:74], v[69:70], s[0:1], -v[12:13]
	v_add_f64 v[61:62], v[85:86], v[83:84]
	v_add_f64 v[32:33], v[75:76], v[32:33]
	;; [unrolled: 1-line block ×3, first 2 shown]
	v_fma_f64 v[12:13], v[69:70], s[0:1], v[12:13]
	v_fma_f64 v[75:76], v[67:68], s[6:7], v[38:39]
	v_add_f64 v[40:41], v[57:58], v[40:41]
	v_fma_f64 v[57:58], v[69:70], s[6:7], -v[71:72]
	v_mul_f64 v[77:78], v[63:64], s[22:23]
	v_fma_f64 v[59:60], v[67:68], s[0:1], -v[59:60]
	v_add_f64 v[51:52], v[73:74], v[51:52]
	v_mul_f64 v[73:74], v[65:66], s[22:23]
	v_add_f64 v[12:13], v[12:13], v[30:31]
	v_add_f64 v[30:31], v[75:76], v[34:35]
	v_fma_f64 v[34:35], v[67:68], s[6:7], -v[38:39]
	v_add_f64 v[38:39], v[57:58], v[61:62]
	v_fma_f64 v[57:58], v[69:70], s[6:7], v[71:72]
	v_fma_f64 v[61:62], v[53:54], s[0:1], -v[77:78]
	v_mul_f64 v[67:68], v[65:66], s[24:25]
	v_mul_f64 v[69:70], v[63:64], s[24:25]
	v_add_f64 v[18:19], v[59:60], v[18:19]
	v_fma_f64 v[59:60], v[55:56], s[0:1], v[73:74]
	v_fma_f64 v[71:72], v[55:56], s[0:1], -v[73:74]
	v_fma_f64 v[73:74], v[53:54], s[0:1], v[77:78]
	v_add_f64 v[0:1], v[34:35], v[0:1]
	v_add_f64 v[2:3], v[57:58], v[2:3]
	;; [unrolled: 1-line block ×3, first 2 shown]
	v_fma_f64 v[8:9], v[55:56], s[8:9], v[67:68]
	v_fma_f64 v[57:58], v[53:54], s[8:9], -v[69:70]
	v_add_f64 v[4:5], v[59:60], v[4:5]
	v_mul_f64 v[61:62], v[63:64], s[16:17]
	v_add_f64 v[59:60], v[73:74], v[14:15]
	v_mul_f64 v[14:15], v[65:66], s[16:17]
	v_fma_f64 v[67:68], v[55:56], s[8:9], -v[67:68]
	v_fma_f64 v[69:70], v[53:54], s[8:9], v[69:70]
	v_add_f64 v[8:9], v[8:9], v[20:21]
	v_add_f64 v[57:58], v[57:58], v[22:23]
	v_mul_f64 v[20:21], v[65:66], s[34:35]
	v_mul_f64 v[22:23], v[63:64], s[34:35]
	v_add_f64 v[10:11], v[71:72], v[10:11]
	v_fma_f64 v[71:72], v[55:56], s[2:3], v[14:15]
	v_add_f64 v[24:25], v[67:68], v[24:25]
	v_add_f64 v[67:68], v[69:70], v[6:7]
	v_fma_f64 v[6:7], v[55:56], s[2:3], -v[14:15]
	v_fma_f64 v[14:15], v[53:54], s[2:3], v[61:62]
	v_mul_f64 v[65:66], v[65:66], s[14:15]
	v_fma_f64 v[73:74], v[53:54], s[2:3], -v[61:62]
	v_fma_f64 v[61:62], v[55:56], s[6:7], v[20:21]
	v_fma_f64 v[69:70], v[53:54], s[6:7], -v[22:23]
	v_mul_f64 v[63:64], v[63:64], s[14:15]
	v_fma_f64 v[22:23], v[53:54], s[6:7], v[22:23]
	v_add_f64 v[6:7], v[6:7], v[32:33]
	v_add_f64 v[32:33], v[14:15], v[42:43]
	v_fma_f64 v[42:43], v[55:56], s[4:5], v[65:66]
	v_fma_f64 v[20:21], v[55:56], s[6:7], -v[20:21]
	v_fma_f64 v[55:56], v[55:56], s[4:5], -v[65:66]
	v_add_f64 v[14:15], v[61:62], v[40:41]
	v_add_f64 v[40:41], v[69:70], v[51:52]
	v_fma_f64 v[51:52], v[53:54], s[4:5], -v[63:64]
	v_fma_f64 v[53:54], v[53:54], s[4:5], v[63:64]
	v_add_f64 v[26:27], v[71:72], v[26:27]
	v_add_f64 v[61:62], v[22:23], v[12:13]
	;; [unrolled: 1-line block ×5, first 2 shown]
	v_mul_u32_u24_e32 v63, 0x79, v101
	v_add_f64 v[30:31], v[51:52], v[38:39]
	v_add_f64 v[38:39], v[53:54], v[2:3]
	v_lshl_add_u32 v2, v63, 3, 0
	s_movk_i32 s33, 0x58
	v_mad_u32_u24 v42, v50, s33, v2
	s_movk_i32 s33, 0xffb0
	v_lshl_add_u32 v22, v50, 3, v2
	v_mad_i32_i24 v23, v50, s33, v42
	s_load_dwordx2 s[30:31], s[30:31], 0x0
	ds_write2_b64 v42, v[16:17], v[4:5] offset1:1
	ds_write2_b64 v42, v[8:9], v[26:27] offset0:2 offset1:3
	ds_write2_b64 v42, v[14:15], v[12:13] offset0:4 offset1:5
	;; [unrolled: 1-line block ×4, first 2 shown]
	ds_write_b64 v42, v[10:11] offset:80
	s_waitcnt lgkmcnt(0)
	s_barrier
	ds_read_b64 v[20:21], v22
	ds_read2_b64 v[0:3], v23 offset0:11 offset1:22
	ds_read2_b64 v[8:11], v23 offset0:33 offset1:44
	;; [unrolled: 1-line block ×5, first 2 shown]
	v_add_f64 v[36:37], v[73:74], v[36:37]
	s_waitcnt lgkmcnt(0)
	s_barrier
	ds_write2_b64 v42, v[28:29], v[34:35] offset1:1
	ds_write2_b64 v42, v[57:58], v[36:37] offset0:2 offset1:3
	ds_write2_b64 v42, v[40:41], v[30:31] offset0:4 offset1:5
	;; [unrolled: 1-line block ×4, first 2 shown]
	ds_write_b64 v42, v[59:60] offset:80
	s_waitcnt lgkmcnt(0)
	s_barrier
	s_and_saveexec_b64 s[36:37], vcc
	s_cbranch_execz .LBB0_14
; %bb.13:
	v_mul_u32_u24_e32 v24, 10, v50
	v_lshlrev_b32_e32 v28, 4, v24
	global_load_dwordx4 v[24:27], v28, s[12:13] offset:64
	global_load_dwordx4 v[30:33], v28, s[12:13] offset:80
	;; [unrolled: 1-line block ×8, first 2 shown]
	global_load_dwordx4 v[72:75], v28, s[12:13]
	global_load_dwordx4 v[76:79], v28, s[12:13] offset:144
	ds_read2_b64 v[80:83], v23 offset0:55 offset1:66
	ds_read2_b64 v[84:87], v23 offset0:33 offset1:44
	ds_read2_b64 v[88:91], v23 offset0:77 offset1:88
	ds_read2_b64 v[92:95], v23 offset0:11 offset1:22
	ds_read2_b64 v[96:99], v23 offset0:99 offset1:110
	ds_read_b64 v[22:23], v22
	s_waitcnt vmcnt(9)
	v_mul_f64 v[28:29], v[16:17], v[24:25]
	s_waitcnt vmcnt(8)
	v_mul_f64 v[36:37], v[18:19], v[30:31]
	v_mul_f64 v[16:17], v[16:17], v[26:27]
	;; [unrolled: 1-line block ×3, first 2 shown]
	s_waitcnt vmcnt(7)
	v_mul_f64 v[42:43], v[10:11], v[38:39]
	s_waitcnt vmcnt(6)
	v_mul_f64 v[50:51], v[12:13], v[52:53]
	v_mul_f64 v[10:11], v[10:11], v[40:41]
	;; [unrolled: 1-line block ×3, first 2 shown]
	s_waitcnt vmcnt(5)
	v_mul_f64 v[100:101], v[8:9], v[56:57]
	v_mul_f64 v[8:9], v[8:9], v[58:59]
	s_waitcnt vmcnt(1)
	v_mul_f64 v[108:109], v[0:1], v[72:73]
	s_waitcnt vmcnt(0)
	v_mul_f64 v[110:111], v[6:7], v[76:77]
	v_mul_f64 v[0:1], v[0:1], v[74:75]
	;; [unrolled: 1-line block ×9, first 2 shown]
	s_waitcnt lgkmcnt(5)
	v_fma_f64 v[34:35], v[80:81], v[26:27], v[28:29]
	v_fma_f64 v[28:29], v[82:83], v[32:33], v[36:37]
	v_fma_f64 v[36:37], v[80:81], v[24:25], -v[16:17]
	v_fma_f64 v[32:33], v[82:83], v[30:31], -v[18:19]
	s_waitcnt lgkmcnt(3)
	v_fma_f64 v[24:25], v[88:89], v[54:55], v[50:51]
	v_fma_f64 v[50:51], v[86:87], v[38:39], -v[10:11]
	v_fma_f64 v[26:27], v[88:89], v[52:53], -v[12:13]
	v_fma_f64 v[54:55], v[84:85], v[58:59], v[100:101]
	v_fma_f64 v[58:59], v[84:85], v[56:57], -v[8:9]
	s_waitcnt lgkmcnt(2)
	v_fma_f64 v[82:83], v[92:93], v[74:75], v[108:109]
	s_waitcnt lgkmcnt(1)
	v_fma_f64 v[8:9], v[98:99], v[78:79], v[110:111]
	v_fma_f64 v[88:89], v[92:93], v[72:73], -v[0:1]
	v_fma_f64 v[10:11], v[98:99], v[76:77], -v[6:7]
	v_fma_f64 v[42:43], v[86:87], v[40:41], v[42:43]
	v_fma_f64 v[16:17], v[90:91], v[62:63], v[102:103]
	v_fma_f64 v[18:19], v[90:91], v[60:61], -v[14:15]
	v_fma_f64 v[62:63], v[94:95], v[66:67], v[104:105]
	v_fma_f64 v[12:13], v[96:97], v[70:71], v[106:107]
	v_fma_f64 v[64:65], v[94:95], v[64:65], -v[2:3]
	v_fma_f64 v[14:15], v[96:97], v[68:69], -v[4:5]
	v_add_f64 v[94:95], v[82:83], -v[8:9]
	v_add_f64 v[86:87], v[88:89], -v[10:11]
	v_add_f64 v[74:75], v[88:89], v[10:11]
	v_add_f64 v[80:81], v[82:83], v[8:9]
	v_add_f64 v[92:93], v[54:55], -v[16:17]
	v_add_f64 v[96:97], v[62:63], -v[12:13]
	;; [unrolled: 1-line block ×4, first 2 shown]
	v_mul_f64 v[0:1], v[94:95], s[22:23]
	v_mul_f64 v[2:3], v[86:87], s[22:23]
	v_add_f64 v[66:67], v[64:65], v[14:15]
	v_add_f64 v[72:73], v[62:63], v[12:13]
	v_mul_f64 v[112:113], v[94:95], s[16:17]
	v_mul_f64 v[4:5], v[96:97], s[24:25]
	v_add_f64 v[70:71], v[42:43], -v[24:25]
	v_mul_f64 v[6:7], v[84:85], s[24:25]
	v_fma_f64 v[128:129], v[74:75], s[0:1], v[0:1]
	v_fma_f64 v[130:131], v[80:81], s[0:1], -v[2:3]
	v_fma_f64 v[0:1], v[74:75], s[0:1], -v[0:1]
	v_fma_f64 v[2:3], v[80:81], s[0:1], v[2:3]
	v_add_f64 v[40:41], v[58:59], v[18:19]
	v_add_f64 v[90:91], v[50:51], -v[26:27]
	v_add_f64 v[68:69], v[54:55], v[16:17]
	v_mul_f64 v[98:99], v[92:93], s[16:17]
	v_mul_f64 v[100:101], v[78:79], s[16:17]
	;; [unrolled: 1-line block ×4, first 2 shown]
	v_fma_f64 v[132:133], v[66:67], s[8:9], v[4:5]
	v_fma_f64 v[134:135], v[72:73], s[8:9], -v[6:7]
	v_fma_f64 v[4:5], v[66:67], s[8:9], -v[4:5]
	v_fma_f64 v[6:7], v[72:73], s[8:9], v[6:7]
	v_fma_f64 v[148:149], v[74:75], s[2:3], v[112:113]
	s_waitcnt lgkmcnt(0)
	v_add_f64 v[0:1], v[22:23], v[0:1]
	v_add_f64 v[2:3], v[20:21], v[2:3]
	v_add_f64 v[56:57], v[34:35], -v[28:29]
	v_add_f64 v[38:39], v[50:51], v[26:27]
	v_add_f64 v[76:77], v[36:37], -v[32:33]
	v_add_f64 v[60:61], v[42:43], v[24:25]
	v_mul_f64 v[104:105], v[70:71], s[34:35]
	v_mul_f64 v[108:109], v[90:91], s[34:35]
	;; [unrolled: 1-line block ×4, first 2 shown]
	v_fma_f64 v[136:137], v[40:41], s[2:3], v[98:99]
	v_fma_f64 v[138:139], v[68:69], s[2:3], -v[100:101]
	v_fma_f64 v[98:99], v[40:41], s[2:3], -v[98:99]
	v_fma_f64 v[100:101], v[68:69], s[2:3], v[100:101]
	v_fma_f64 v[150:151], v[80:81], s[2:3], -v[114:115]
	v_add_f64 v[128:129], v[22:23], v[128:129]
	v_add_f64 v[130:131], v[20:21], v[130:131]
	v_fma_f64 v[152:153], v[66:67], s[4:5], v[110:111]
	v_add_f64 v[148:149], v[22:23], v[148:149]
	v_add_f64 v[0:1], v[4:5], v[0:1]
	;; [unrolled: 1-line block ×5, first 2 shown]
	v_mul_f64 v[102:103], v[56:57], s[14:15]
	v_mul_f64 v[106:107], v[76:77], s[14:15]
	;; [unrolled: 1-line block ×4, first 2 shown]
	v_fma_f64 v[140:141], v[38:39], s[6:7], v[104:105]
	v_fma_f64 v[142:143], v[60:61], s[6:7], -v[108:109]
	v_fma_f64 v[104:105], v[38:39], s[6:7], -v[104:105]
	v_fma_f64 v[108:109], v[60:61], s[6:7], v[108:109]
	v_fma_f64 v[154:155], v[72:73], s[4:5], -v[116:117]
	v_fma_f64 v[156:157], v[40:41], s[8:9], v[118:119]
	v_add_f64 v[128:129], v[132:133], v[128:129]
	v_add_f64 v[130:131], v[134:135], v[130:131]
	;; [unrolled: 1-line block ×6, first 2 shown]
	v_mul_f64 v[126:127], v[56:57], s[34:35]
	v_fma_f64 v[144:145], v[30:31], s[4:5], v[102:103]
	v_fma_f64 v[146:147], v[52:53], s[4:5], -v[106:107]
	v_fma_f64 v[102:103], v[30:31], s[4:5], -v[102:103]
	v_fma_f64 v[106:107], v[52:53], s[4:5], v[106:107]
	v_fma_f64 v[4:5], v[68:69], s[8:9], -v[120:121]
	v_fma_f64 v[132:133], v[38:39], s[0:1], v[122:123]
	v_add_f64 v[128:129], v[136:137], v[128:129]
	v_add_f64 v[130:131], v[138:139], v[130:131]
	;; [unrolled: 1-line block ×3, first 2 shown]
	v_fma_f64 v[100:101], v[74:75], s[2:3], -v[112:113]
	v_add_f64 v[112:113], v[156:157], v[134:135]
	v_add_f64 v[104:105], v[104:105], v[0:1]
	;; [unrolled: 1-line block ×3, first 2 shown]
	v_fma_f64 v[114:115], v[80:81], s[2:3], v[114:115]
	v_mul_f64 v[124:125], v[90:91], s[22:23]
	v_add_f64 v[128:129], v[140:141], v[128:129]
	v_add_f64 v[130:131], v[142:143], v[130:131]
	v_fma_f64 v[110:111], v[66:67], s[4:5], -v[110:111]
	v_add_f64 v[134:135], v[4:5], v[6:7]
	v_add_f64 v[112:113], v[132:133], v[112:113]
	;; [unrolled: 1-line block ×5, first 2 shown]
	v_fma_f64 v[102:103], v[30:31], s[6:7], v[126:127]
	v_fma_f64 v[106:107], v[72:73], s[4:5], v[116:117]
	v_mul_f64 v[108:109], v[94:95], s[14:15]
	v_add_f64 v[114:115], v[20:21], v[114:115]
	v_mul_f64 v[116:117], v[86:87], s[14:15]
	v_fma_f64 v[98:99], v[60:61], s[0:1], -v[124:125]
	v_add_f64 v[2:3], v[144:145], v[128:129]
	v_add_f64 v[0:1], v[146:147], v[130:131]
	;; [unrolled: 1-line block ×3, first 2 shown]
	v_fma_f64 v[118:119], v[40:41], s[8:9], -v[118:119]
	v_add_f64 v[100:101], v[102:103], v[112:113]
	v_mul_f64 v[112:113], v[96:97], s[26:27]
	v_fma_f64 v[128:129], v[74:75], s[4:5], v[108:109]
	v_add_f64 v[106:107], v[106:107], v[114:115]
	v_fma_f64 v[114:115], v[80:81], s[4:5], -v[116:117]
	v_mul_f64 v[130:131], v[84:85], s[26:27]
	v_add_f64 v[98:99], v[98:99], v[134:135]
	v_add_f64 v[110:111], v[118:119], v[110:111]
	v_fma_f64 v[118:119], v[68:69], s[8:9], v[120:121]
	v_fma_f64 v[120:121], v[38:39], s[0:1], -v[122:123]
	v_fma_f64 v[122:123], v[66:67], s[0:1], v[112:113]
	v_add_f64 v[128:129], v[22:23], v[128:129]
	v_mul_f64 v[132:133], v[92:93], s[34:35]
	v_add_f64 v[114:115], v[20:21], v[114:115]
	v_fma_f64 v[134:135], v[72:73], s[0:1], -v[130:131]
	v_mul_f64 v[136:137], v[78:79], s[34:35]
	v_add_f64 v[106:107], v[118:119], v[106:107]
	v_fma_f64 v[118:119], v[30:31], s[6:7], -v[126:127]
	v_mul_f64 v[138:139], v[90:91], s[20:21]
	v_add_f64 v[122:123], v[122:123], v[128:129]
	v_fma_f64 v[126:127], v[40:41], s[6:7], v[132:133]
	v_mul_f64 v[104:105], v[76:77], s[34:35]
	v_add_f64 v[114:115], v[134:135], v[114:115]
	v_fma_f64 v[134:135], v[68:69], s[6:7], -v[136:137]
	v_fma_f64 v[124:125], v[60:61], s[0:1], v[124:125]
	v_mul_f64 v[128:129], v[70:71], s[20:21]
	v_add_f64 v[110:111], v[120:121], v[110:111]
	v_fma_f64 v[108:109], v[74:75], s[4:5], -v[108:109]
	v_add_f64 v[122:123], v[126:127], v[122:123]
	v_fma_f64 v[126:127], v[60:61], s[8:9], -v[138:139]
	v_fma_f64 v[102:103], v[52:53], s[6:7], -v[104:105]
	v_add_f64 v[114:115], v[134:135], v[114:115]
	v_fma_f64 v[120:121], v[52:53], s[6:7], v[104:105]
	v_add_f64 v[106:107], v[124:125], v[106:107]
	v_fma_f64 v[124:125], v[38:39], s[8:9], v[128:129]
	v_mul_f64 v[134:135], v[56:57], s[16:17]
	v_add_f64 v[104:105], v[118:119], v[110:111]
	v_fma_f64 v[110:111], v[66:67], s[0:1], -v[112:113]
	v_add_f64 v[108:109], v[22:23], v[108:109]
	v_add_f64 v[112:113], v[126:127], v[114:115]
	v_fma_f64 v[114:115], v[80:81], s[4:5], v[116:117]
	v_add_f64 v[98:99], v[102:103], v[98:99]
	v_add_f64 v[102:103], v[120:121], v[106:107]
	;; [unrolled: 1-line block ×3, first 2 shown]
	v_fma_f64 v[116:117], v[30:31], s[2:3], v[134:135]
	v_mul_f64 v[118:119], v[94:95], s[18:19]
	v_add_f64 v[110:111], v[110:111], v[108:109]
	v_fma_f64 v[122:123], v[40:41], s[6:7], -v[132:133]
	v_mul_f64 v[124:125], v[86:87], s[18:19]
	v_fma_f64 v[126:127], v[72:73], s[0:1], v[130:131]
	v_add_f64 v[114:115], v[20:21], v[114:115]
	v_mul_f64 v[132:133], v[84:85], s[16:17]
	v_add_f64 v[108:109], v[116:117], v[106:107]
	v_fma_f64 v[106:107], v[74:75], s[6:7], v[118:119]
	v_mul_f64 v[116:117], v[96:97], s[16:17]
	v_add_f64 v[110:111], v[122:123], v[110:111]
	v_fma_f64 v[122:123], v[80:81], s[6:7], -v[124:125]
	v_mul_f64 v[120:121], v[76:77], s[16:17]
	v_add_f64 v[114:115], v[126:127], v[114:115]
	v_fma_f64 v[126:127], v[68:69], s[6:7], v[136:137]
	v_mul_f64 v[140:141], v[92:93], s[26:27]
	v_add_f64 v[106:107], v[22:23], v[106:107]
	v_fma_f64 v[136:137], v[66:67], s[2:3], v[116:117]
	v_fma_f64 v[128:129], v[38:39], s[8:9], -v[128:129]
	v_add_f64 v[122:123], v[20:21], v[122:123]
	v_fma_f64 v[142:143], v[72:73], s[2:3], -v[132:133]
	v_mul_f64 v[144:145], v[78:79], s[26:27]
	v_add_f64 v[114:115], v[126:127], v[114:115]
	v_fma_f64 v[126:127], v[60:61], s[8:9], v[138:139]
	v_fma_f64 v[130:131], v[52:53], s[2:3], -v[120:121]
	v_add_f64 v[106:107], v[136:137], v[106:107]
	v_fma_f64 v[136:137], v[40:41], s[0:1], v[140:141]
	v_add_f64 v[110:111], v[128:129], v[110:111]
	v_add_f64 v[122:123], v[142:143], v[122:123]
	v_fma_f64 v[128:129], v[68:69], s[0:1], -v[144:145]
	v_mul_f64 v[142:143], v[90:91], s[28:29]
	v_add_f64 v[114:115], v[126:127], v[114:115]
	v_fma_f64 v[126:127], v[30:31], s[2:3], -v[134:135]
	v_fma_f64 v[120:121], v[52:53], s[2:3], v[120:121]
	v_mul_f64 v[138:139], v[70:71], s[28:29]
	v_add_f64 v[134:135], v[136:137], v[106:107]
	v_add_f64 v[106:107], v[130:131], v[112:113]
	;; [unrolled: 1-line block ×3, first 2 shown]
	v_fma_f64 v[128:129], v[60:61], s[4:5], -v[142:143]
	v_add_f64 v[88:89], v[22:23], v[88:89]
	v_add_f64 v[112:113], v[126:127], v[110:111]
	;; [unrolled: 1-line block ×3, first 2 shown]
	v_fma_f64 v[114:115], v[74:75], s[6:7], -v[118:119]
	v_fma_f64 v[120:121], v[80:81], s[6:7], v[124:125]
	v_add_f64 v[82:83], v[20:21], v[82:83]
	v_fma_f64 v[136:137], v[38:39], s[4:5], v[138:139]
	v_add_f64 v[118:119], v[128:129], v[122:123]
	v_fma_f64 v[116:117], v[66:67], s[2:3], -v[116:117]
	v_fma_f64 v[128:129], v[72:73], s[2:3], v[132:133]
	v_add_f64 v[64:65], v[64:65], v[88:89]
	v_add_f64 v[114:115], v[22:23], v[114:115]
	;; [unrolled: 1-line block ×4, first 2 shown]
	v_mul_f64 v[126:127], v[94:95], s[20:21]
	v_add_f64 v[94:95], v[136:137], v[134:135]
	v_mul_f64 v[134:135], v[92:93], s[14:15]
	v_mul_f64 v[86:87], v[86:87], s[20:21]
	v_add_f64 v[58:59], v[58:59], v[64:65]
	v_add_f64 v[92:93], v[116:117], v[114:115]
	;; [unrolled: 1-line block ×3, first 2 shown]
	v_fma_f64 v[120:121], v[68:69], s[0:1], v[144:145]
	v_add_f64 v[54:55], v[54:55], v[62:63]
	v_mul_f64 v[84:85], v[84:85], s[18:19]
	v_fma_f64 v[124:125], v[74:75], s[8:9], v[126:127]
	v_mul_f64 v[96:97], v[96:97], s[18:19]
	v_add_f64 v[50:51], v[50:51], v[58:59]
	v_fma_f64 v[74:75], v[74:75], s[8:9], -v[126:127]
	v_mul_f64 v[78:79], v[78:79], s[14:15]
	v_add_f64 v[88:89], v[120:121], v[116:117]
	v_fma_f64 v[116:117], v[60:61], s[4:5], v[142:143]
	v_add_f64 v[42:43], v[42:43], v[54:55]
	v_add_f64 v[124:125], v[22:23], v[124:125]
	v_fma_f64 v[132:133], v[66:67], s[6:7], v[96:97]
	v_add_f64 v[36:37], v[36:37], v[50:51]
	v_fma_f64 v[66:67], v[66:67], s[6:7], -v[96:97]
	v_add_f64 v[22:23], v[22:23], v[74:75]
	v_mul_f64 v[90:91], v[90:91], s[16:17]
	v_add_f64 v[64:65], v[116:117], v[88:89]
	v_fma_f64 v[88:89], v[80:81], s[8:9], -v[86:87]
	v_add_f64 v[34:35], v[34:35], v[42:43]
	v_fma_f64 v[80:81], v[80:81], s[8:9], v[86:87]
	v_fma_f64 v[42:43], v[72:73], s[6:7], -v[84:85]
	v_add_f64 v[32:33], v[32:33], v[36:37]
	v_fma_f64 v[72:73], v[72:73], s[6:7], v[84:85]
	v_fma_f64 v[114:115], v[40:41], s[0:1], -v[140:141]
	v_fma_f64 v[128:129], v[40:41], s[4:5], v[134:135]
	v_add_f64 v[50:51], v[20:21], v[88:89]
	v_add_f64 v[28:29], v[28:29], v[34:35]
	v_add_f64 v[20:21], v[20:21], v[80:81]
	v_fma_f64 v[34:35], v[68:69], s[4:5], -v[78:79]
	v_mul_f64 v[70:71], v[70:71], s[16:17]
	v_fma_f64 v[40:41], v[40:41], s[4:5], -v[134:135]
	v_add_f64 v[22:23], v[66:67], v[22:23]
	v_add_f64 v[26:27], v[26:27], v[32:33]
	;; [unrolled: 1-line block ×4, first 2 shown]
	v_fma_f64 v[42:43], v[68:69], s[4:5], v[78:79]
	v_add_f64 v[20:21], v[72:73], v[20:21]
	v_mul_f64 v[122:123], v[76:77], s[24:25]
	v_mul_f64 v[76:77], v[76:77], s[22:23]
	v_fma_f64 v[28:29], v[60:61], s[2:3], -v[90:91]
	v_mul_f64 v[146:147], v[56:57], s[24:25]
	v_add_f64 v[32:33], v[34:35], v[36:37]
	v_add_f64 v[124:125], v[132:133], v[124:125]
	v_fma_f64 v[34:35], v[38:39], s[2:3], -v[70:71]
	v_add_f64 v[22:23], v[40:41], v[22:23]
	v_add_f64 v[18:19], v[18:19], v[26:27]
	;; [unrolled: 1-line block ×3, first 2 shown]
	v_mul_f64 v[56:57], v[56:57], s[22:23]
	v_fma_f64 v[36:37], v[60:61], s[2:3], v[90:91]
	v_add_f64 v[20:21], v[42:43], v[20:21]
	v_add_f64 v[114:115], v[114:115], v[92:93]
	v_fma_f64 v[132:133], v[38:39], s[4:5], -v[138:139]
	v_fma_f64 v[24:25], v[52:53], s[0:1], -v[76:77]
	v_add_f64 v[26:27], v[28:29], v[32:33]
	v_fma_f64 v[130:131], v[30:31], s[8:9], v[146:147]
	v_add_f64 v[82:83], v[128:129], v[124:125]
	v_fma_f64 v[120:121], v[38:39], s[2:3], v[70:71]
	v_add_f64 v[22:23], v[34:35], v[22:23]
	v_add_f64 v[32:33], v[14:15], v[18:19]
	;; [unrolled: 1-line block ×3, first 2 shown]
	v_mul_lo_u32 v136, s31, v46
	v_mul_lo_u32 v137, s30, v47
	v_mad_u64_u32 v[46:47], s[12:13], s30, v46, 0
	v_fma_f64 v[54:55], v[30:31], s[8:9], -v[146:147]
	v_fma_f64 v[86:87], v[30:31], s[0:1], v[56:57]
	v_fma_f64 v[28:29], v[30:31], s[0:1], -v[56:57]
	v_fma_f64 v[30:31], v[52:53], s[0:1], v[76:77]
	v_add_f64 v[20:21], v[36:37], v[20:21]
	v_add_f64 v[62:63], v[132:133], v[114:115]
	v_fma_f64 v[58:59], v[52:53], s[8:9], v[122:123]
	v_add3_u32 v47, v47, v137, v136
	v_add_f64 v[16:17], v[24:25], v[26:27]
	v_lshlrev_b64 v[24:25], 4, v[46:47]
	v_add_f64 v[94:95], v[130:131], v[94:95]
	v_fma_f64 v[130:131], v[52:53], s[8:9], -v[122:123]
	v_add_f64 v[82:83], v[120:121], v[82:83]
	v_add_f64 v[10:11], v[10:11], v[32:33]
	;; [unrolled: 1-line block ×3, first 2 shown]
	v_mov_b32_e32 v26, s11
	v_add_co_u32_e32 v27, vcc, s10, v24
	v_add_f64 v[22:23], v[28:29], v[22:23]
	v_add_f64 v[20:21], v[30:31], v[20:21]
	v_addc_co_u32_e32 v26, vcc, v26, v25, vcc
	v_lshlrev_b64 v[24:25], 4, v[44:45]
	v_add_f64 v[14:15], v[54:55], v[62:63]
	v_add_f64 v[12:13], v[58:59], v[64:65]
	v_add_co_u32_e32 v27, vcc, v27, v24
	v_addc_co_u32_e32 v26, vcc, v26, v25, vcc
	v_lshlrev_b64 v[24:25], 4, v[48:49]
	v_add_f64 v[92:93], v[130:131], v[118:119]
	v_add_co_u32_e32 v24, vcc, v27, v24
	v_addc_co_u32_e32 v25, vcc, v26, v25, vcc
	v_add_f64 v[18:19], v[86:87], v[82:83]
	global_store_dwordx4 v[24:25], v[8:11], off
	global_store_dwordx4 v[24:25], v[20:23], off offset:176
	global_store_dwordx4 v[24:25], v[12:15], off offset:352
	;; [unrolled: 1-line block ×10, first 2 shown]
.LBB0_14:
	s_endpgm
	.section	.rodata,"a",@progbits
	.p2align	6, 0x0
	.amdhsa_kernel fft_rtc_back_len121_factors_11_11_wgs_121_tpt_11_halfLds_dp_op_CI_CI_unitstride_sbrr_dirReg
		.amdhsa_group_segment_fixed_size 0
		.amdhsa_private_segment_fixed_size 0
		.amdhsa_kernarg_size 104
		.amdhsa_user_sgpr_count 6
		.amdhsa_user_sgpr_private_segment_buffer 1
		.amdhsa_user_sgpr_dispatch_ptr 0
		.amdhsa_user_sgpr_queue_ptr 0
		.amdhsa_user_sgpr_kernarg_segment_ptr 1
		.amdhsa_user_sgpr_dispatch_id 0
		.amdhsa_user_sgpr_flat_scratch_init 0
		.amdhsa_user_sgpr_private_segment_size 0
		.amdhsa_uses_dynamic_stack 0
		.amdhsa_system_sgpr_private_segment_wavefront_offset 0
		.amdhsa_system_sgpr_workgroup_id_x 1
		.amdhsa_system_sgpr_workgroup_id_y 0
		.amdhsa_system_sgpr_workgroup_id_z 0
		.amdhsa_system_sgpr_workgroup_info 0
		.amdhsa_system_vgpr_workitem_id 0
		.amdhsa_next_free_vgpr 158
		.amdhsa_next_free_sgpr 38
		.amdhsa_reserve_vcc 1
		.amdhsa_reserve_flat_scratch 0
		.amdhsa_float_round_mode_32 0
		.amdhsa_float_round_mode_16_64 0
		.amdhsa_float_denorm_mode_32 3
		.amdhsa_float_denorm_mode_16_64 3
		.amdhsa_dx10_clamp 1
		.amdhsa_ieee_mode 1
		.amdhsa_fp16_overflow 0
		.amdhsa_exception_fp_ieee_invalid_op 0
		.amdhsa_exception_fp_denorm_src 0
		.amdhsa_exception_fp_ieee_div_zero 0
		.amdhsa_exception_fp_ieee_overflow 0
		.amdhsa_exception_fp_ieee_underflow 0
		.amdhsa_exception_fp_ieee_inexact 0
		.amdhsa_exception_int_div_zero 0
	.end_amdhsa_kernel
	.text
.Lfunc_end0:
	.size	fft_rtc_back_len121_factors_11_11_wgs_121_tpt_11_halfLds_dp_op_CI_CI_unitstride_sbrr_dirReg, .Lfunc_end0-fft_rtc_back_len121_factors_11_11_wgs_121_tpt_11_halfLds_dp_op_CI_CI_unitstride_sbrr_dirReg
                                        ; -- End function
	.section	.AMDGPU.csdata,"",@progbits
; Kernel info:
; codeLenInByte = 7244
; NumSgprs: 42
; NumVgprs: 158
; ScratchSize: 0
; MemoryBound: 1
; FloatMode: 240
; IeeeMode: 1
; LDSByteSize: 0 bytes/workgroup (compile time only)
; SGPRBlocks: 5
; VGPRBlocks: 39
; NumSGPRsForWavesPerEU: 42
; NumVGPRsForWavesPerEU: 158
; Occupancy: 1
; WaveLimiterHint : 1
; COMPUTE_PGM_RSRC2:SCRATCH_EN: 0
; COMPUTE_PGM_RSRC2:USER_SGPR: 6
; COMPUTE_PGM_RSRC2:TRAP_HANDLER: 0
; COMPUTE_PGM_RSRC2:TGID_X_EN: 1
; COMPUTE_PGM_RSRC2:TGID_Y_EN: 0
; COMPUTE_PGM_RSRC2:TGID_Z_EN: 0
; COMPUTE_PGM_RSRC2:TIDIG_COMP_CNT: 0
	.type	__hip_cuid_83378dd92ef607d3,@object ; @__hip_cuid_83378dd92ef607d3
	.section	.bss,"aw",@nobits
	.globl	__hip_cuid_83378dd92ef607d3
__hip_cuid_83378dd92ef607d3:
	.byte	0                               ; 0x0
	.size	__hip_cuid_83378dd92ef607d3, 1

	.ident	"AMD clang version 19.0.0git (https://github.com/RadeonOpenCompute/llvm-project roc-6.4.0 25133 c7fe45cf4b819c5991fe208aaa96edf142730f1d)"
	.section	".note.GNU-stack","",@progbits
	.addrsig
	.addrsig_sym __hip_cuid_83378dd92ef607d3
	.amdgpu_metadata
---
amdhsa.kernels:
  - .args:
      - .actual_access:  read_only
        .address_space:  global
        .offset:         0
        .size:           8
        .value_kind:     global_buffer
      - .offset:         8
        .size:           8
        .value_kind:     by_value
      - .actual_access:  read_only
        .address_space:  global
        .offset:         16
        .size:           8
        .value_kind:     global_buffer
      - .actual_access:  read_only
        .address_space:  global
        .offset:         24
        .size:           8
        .value_kind:     global_buffer
      - .actual_access:  read_only
        .address_space:  global
        .offset:         32
        .size:           8
        .value_kind:     global_buffer
      - .offset:         40
        .size:           8
        .value_kind:     by_value
      - .actual_access:  read_only
        .address_space:  global
        .offset:         48
        .size:           8
        .value_kind:     global_buffer
      - .actual_access:  read_only
        .address_space:  global
        .offset:         56
        .size:           8
        .value_kind:     global_buffer
      - .offset:         64
        .size:           4
        .value_kind:     by_value
      - .actual_access:  read_only
        .address_space:  global
        .offset:         72
        .size:           8
        .value_kind:     global_buffer
      - .actual_access:  read_only
        .address_space:  global
        .offset:         80
        .size:           8
        .value_kind:     global_buffer
      - .actual_access:  read_only
        .address_space:  global
        .offset:         88
        .size:           8
        .value_kind:     global_buffer
      - .actual_access:  write_only
        .address_space:  global
        .offset:         96
        .size:           8
        .value_kind:     global_buffer
    .group_segment_fixed_size: 0
    .kernarg_segment_align: 8
    .kernarg_segment_size: 104
    .language:       OpenCL C
    .language_version:
      - 2
      - 0
    .max_flat_workgroup_size: 121
    .name:           fft_rtc_back_len121_factors_11_11_wgs_121_tpt_11_halfLds_dp_op_CI_CI_unitstride_sbrr_dirReg
    .private_segment_fixed_size: 0
    .sgpr_count:     42
    .sgpr_spill_count: 0
    .symbol:         fft_rtc_back_len121_factors_11_11_wgs_121_tpt_11_halfLds_dp_op_CI_CI_unitstride_sbrr_dirReg.kd
    .uniform_work_group_size: 1
    .uses_dynamic_stack: false
    .vgpr_count:     158
    .vgpr_spill_count: 0
    .wavefront_size: 64
amdhsa.target:   amdgcn-amd-amdhsa--gfx906
amdhsa.version:
  - 1
  - 2
...

	.end_amdgpu_metadata
